;; amdgpu-corpus repo=ROCm/rocFFT kind=compiled arch=gfx906 opt=O3
	.text
	.amdgcn_target "amdgcn-amd-amdhsa--gfx906"
	.amdhsa_code_object_version 6
	.protected	fft_rtc_back_len272_factors_16_17_wgs_119_tpt_17_halfLds_half_op_CI_CI_sbrr_dirReg ; -- Begin function fft_rtc_back_len272_factors_16_17_wgs_119_tpt_17_halfLds_half_op_CI_CI_sbrr_dirReg
	.globl	fft_rtc_back_len272_factors_16_17_wgs_119_tpt_17_halfLds_half_op_CI_CI_sbrr_dirReg
	.p2align	8
	.type	fft_rtc_back_len272_factors_16_17_wgs_119_tpt_17_halfLds_half_op_CI_CI_sbrr_dirReg,@function
fft_rtc_back_len272_factors_16_17_wgs_119_tpt_17_halfLds_half_op_CI_CI_sbrr_dirReg: ; @fft_rtc_back_len272_factors_16_17_wgs_119_tpt_17_halfLds_half_op_CI_CI_sbrr_dirReg
; %bb.0:
	s_load_dwordx4 s[16:19], s[4:5], 0x18
	s_load_dwordx4 s[12:15], s[4:5], 0x0
	;; [unrolled: 1-line block ×3, first 2 shown]
	v_mul_u32_u24_e32 v1, 0xf10, v0
	v_lshrrev_b32_e32 v1, 16, v1
	v_mad_u64_u32 v[5:6], s[0:1], s6, 7, v[1:2]
	s_waitcnt lgkmcnt(0)
	s_load_dwordx2 s[20:21], s[16:17], 0x0
	s_load_dwordx2 s[2:3], s[18:19], 0x0
	v_mov_b32_e32 v9, 0
	v_cmp_lt_u64_e64 s[0:1], s[14:15], 2
	v_mov_b32_e32 v7, 0
	v_mov_b32_e32 v6, v9
	;; [unrolled: 1-line block ×5, first 2 shown]
	s_and_b64 vcc, exec, s[0:1]
	v_mov_b32_e32 v2, v8
	v_mov_b32_e32 v4, v6
	s_cbranch_vccnz .LBB0_8
; %bb.1:
	s_load_dwordx2 s[0:1], s[4:5], 0x10
	s_add_u32 s6, s18, 8
	s_addc_u32 s7, s19, 0
	s_add_u32 s22, s16, 8
	s_addc_u32 s23, s17, 0
	v_mov_b32_e32 v7, 0
	s_waitcnt lgkmcnt(0)
	s_add_u32 s24, s0, 8
	v_mov_b32_e32 v8, 0
	v_mov_b32_e32 v1, v7
	;; [unrolled: 1-line block ×3, first 2 shown]
	s_addc_u32 s25, s1, 0
	s_mov_b64 s[26:27], 1
	v_mov_b32_e32 v2, v8
	v_mov_b32_e32 v11, v5
.LBB0_2:                                ; =>This Inner Loop Header: Depth=1
	s_load_dwordx2 s[28:29], s[24:25], 0x0
                                        ; implicit-def: $vgpr3_vgpr4
	s_waitcnt lgkmcnt(0)
	v_or_b32_e32 v10, s29, v12
	v_cmp_ne_u64_e32 vcc, 0, v[9:10]
	s_and_saveexec_b64 s[0:1], vcc
	s_xor_b64 s[30:31], exec, s[0:1]
	s_cbranch_execz .LBB0_4
; %bb.3:                                ;   in Loop: Header=BB0_2 Depth=1
	v_cvt_f32_u32_e32 v3, s28
	v_cvt_f32_u32_e32 v4, s29
	s_sub_u32 s0, 0, s28
	s_subb_u32 s1, 0, s29
	v_mac_f32_e32 v3, 0x4f800000, v4
	v_rcp_f32_e32 v3, v3
	v_mul_f32_e32 v3, 0x5f7ffffc, v3
	v_mul_f32_e32 v4, 0x2f800000, v3
	v_trunc_f32_e32 v4, v4
	v_mac_f32_e32 v3, 0xcf800000, v4
	v_cvt_u32_f32_e32 v4, v4
	v_cvt_u32_f32_e32 v3, v3
	v_mul_lo_u32 v6, s0, v4
	v_mul_hi_u32 v10, s0, v3
	v_mul_lo_u32 v14, s1, v3
	v_mul_lo_u32 v13, s0, v3
	v_add_u32_e32 v6, v10, v6
	v_add_u32_e32 v6, v6, v14
	v_mul_hi_u32 v10, v3, v13
	v_mul_lo_u32 v14, v3, v6
	v_mul_hi_u32 v16, v3, v6
	v_mul_hi_u32 v15, v4, v13
	v_mul_lo_u32 v13, v4, v13
	v_mul_hi_u32 v17, v4, v6
	v_add_co_u32_e32 v10, vcc, v10, v14
	v_addc_co_u32_e32 v14, vcc, 0, v16, vcc
	v_mul_lo_u32 v6, v4, v6
	v_add_co_u32_e32 v10, vcc, v10, v13
	v_addc_co_u32_e32 v10, vcc, v14, v15, vcc
	v_addc_co_u32_e32 v13, vcc, 0, v17, vcc
	v_add_co_u32_e32 v6, vcc, v10, v6
	v_addc_co_u32_e32 v10, vcc, 0, v13, vcc
	v_add_co_u32_e32 v3, vcc, v3, v6
	v_addc_co_u32_e32 v4, vcc, v4, v10, vcc
	v_mul_lo_u32 v6, s0, v4
	v_mul_hi_u32 v10, s0, v3
	v_mul_lo_u32 v13, s1, v3
	v_mul_lo_u32 v14, s0, v3
	v_add_u32_e32 v6, v10, v6
	v_add_u32_e32 v6, v6, v13
	v_mul_lo_u32 v15, v3, v6
	v_mul_hi_u32 v16, v3, v14
	v_mul_hi_u32 v17, v3, v6
	;; [unrolled: 1-line block ×3, first 2 shown]
	v_mul_lo_u32 v14, v4, v14
	v_mul_hi_u32 v10, v4, v6
	v_add_co_u32_e32 v15, vcc, v16, v15
	v_addc_co_u32_e32 v16, vcc, 0, v17, vcc
	v_mul_lo_u32 v6, v4, v6
	v_add_co_u32_e32 v14, vcc, v15, v14
	v_addc_co_u32_e32 v13, vcc, v16, v13, vcc
	v_addc_co_u32_e32 v10, vcc, 0, v10, vcc
	v_add_co_u32_e32 v6, vcc, v13, v6
	v_addc_co_u32_e32 v10, vcc, 0, v10, vcc
	v_add_co_u32_e32 v6, vcc, v3, v6
	v_addc_co_u32_e32 v10, vcc, v4, v10, vcc
	v_mad_u64_u32 v[3:4], s[0:1], v11, v10, 0
	v_mul_hi_u32 v13, v11, v6
	v_add_co_u32_e32 v15, vcc, v13, v3
	v_addc_co_u32_e32 v16, vcc, 0, v4, vcc
	v_mad_u64_u32 v[3:4], s[0:1], v12, v6, 0
	v_mad_u64_u32 v[13:14], s[0:1], v12, v10, 0
	v_add_co_u32_e32 v3, vcc, v15, v3
	v_addc_co_u32_e32 v3, vcc, v16, v4, vcc
	v_addc_co_u32_e32 v4, vcc, 0, v14, vcc
	v_add_co_u32_e32 v6, vcc, v3, v13
	v_addc_co_u32_e32 v10, vcc, 0, v4, vcc
	v_mul_lo_u32 v13, s29, v6
	v_mul_lo_u32 v14, s28, v10
	v_mad_u64_u32 v[3:4], s[0:1], s28, v6, 0
	v_add3_u32 v4, v4, v14, v13
	v_sub_u32_e32 v13, v12, v4
	v_mov_b32_e32 v14, s29
	v_sub_co_u32_e32 v3, vcc, v11, v3
	v_subb_co_u32_e64 v13, s[0:1], v13, v14, vcc
	v_subrev_co_u32_e64 v14, s[0:1], s28, v3
	v_subbrev_co_u32_e64 v13, s[0:1], 0, v13, s[0:1]
	v_cmp_le_u32_e64 s[0:1], s29, v13
	v_cndmask_b32_e64 v15, 0, -1, s[0:1]
	v_cmp_le_u32_e64 s[0:1], s28, v14
	v_cndmask_b32_e64 v14, 0, -1, s[0:1]
	v_cmp_eq_u32_e64 s[0:1], s29, v13
	v_cndmask_b32_e64 v13, v15, v14, s[0:1]
	v_add_co_u32_e64 v14, s[0:1], 2, v6
	v_addc_co_u32_e64 v15, s[0:1], 0, v10, s[0:1]
	v_add_co_u32_e64 v16, s[0:1], 1, v6
	v_addc_co_u32_e64 v17, s[0:1], 0, v10, s[0:1]
	v_subb_co_u32_e32 v4, vcc, v12, v4, vcc
	v_cmp_ne_u32_e64 s[0:1], 0, v13
	v_cmp_le_u32_e32 vcc, s29, v4
	v_cndmask_b32_e64 v13, v17, v15, s[0:1]
	v_cndmask_b32_e64 v15, 0, -1, vcc
	v_cmp_le_u32_e32 vcc, s28, v3
	v_cndmask_b32_e64 v3, 0, -1, vcc
	v_cmp_eq_u32_e32 vcc, s29, v4
	v_cndmask_b32_e32 v3, v15, v3, vcc
	v_cmp_ne_u32_e32 vcc, 0, v3
	v_cndmask_b32_e64 v3, v16, v14, s[0:1]
	v_cndmask_b32_e32 v4, v10, v13, vcc
	v_cndmask_b32_e32 v3, v6, v3, vcc
.LBB0_4:                                ;   in Loop: Header=BB0_2 Depth=1
	s_andn2_saveexec_b64 s[0:1], s[30:31]
	s_cbranch_execz .LBB0_6
; %bb.5:                                ;   in Loop: Header=BB0_2 Depth=1
	v_cvt_f32_u32_e32 v3, s28
	s_sub_i32 s30, 0, s28
	v_rcp_iflag_f32_e32 v3, v3
	v_mul_f32_e32 v3, 0x4f7ffffe, v3
	v_cvt_u32_f32_e32 v3, v3
	v_mul_lo_u32 v4, s30, v3
	v_mul_hi_u32 v4, v3, v4
	v_add_u32_e32 v3, v3, v4
	v_mul_hi_u32 v3, v11, v3
	v_mul_lo_u32 v4, v3, s28
	v_add_u32_e32 v6, 1, v3
	v_sub_u32_e32 v4, v11, v4
	v_subrev_u32_e32 v10, s28, v4
	v_cmp_le_u32_e32 vcc, s28, v4
	v_cndmask_b32_e32 v4, v4, v10, vcc
	v_cndmask_b32_e32 v3, v3, v6, vcc
	v_add_u32_e32 v6, 1, v3
	v_cmp_le_u32_e32 vcc, s28, v4
	v_cndmask_b32_e32 v3, v3, v6, vcc
	v_mov_b32_e32 v4, v9
.LBB0_6:                                ;   in Loop: Header=BB0_2 Depth=1
	s_or_b64 exec, exec, s[0:1]
	v_mul_lo_u32 v6, v4, s28
	v_mul_lo_u32 v10, v3, s29
	v_mad_u64_u32 v[13:14], s[0:1], v3, s28, 0
	s_load_dwordx2 s[0:1], s[22:23], 0x0
	s_load_dwordx2 s[28:29], s[6:7], 0x0
	v_add3_u32 v6, v14, v10, v6
	v_sub_co_u32_e32 v10, vcc, v11, v13
	v_subb_co_u32_e32 v6, vcc, v12, v6, vcc
	s_waitcnt lgkmcnt(0)
	v_mul_lo_u32 v11, s0, v6
	v_mul_lo_u32 v12, s1, v10
	v_mad_u64_u32 v[7:8], s[0:1], s0, v10, v[7:8]
	s_add_u32 s26, s26, 1
	s_addc_u32 s27, s27, 0
	s_add_u32 s6, s6, 8
	v_mul_lo_u32 v6, s28, v6
	v_mul_lo_u32 v13, s29, v10
	v_mad_u64_u32 v[1:2], s[0:1], s28, v10, v[1:2]
	v_add3_u32 v8, v12, v8, v11
	s_addc_u32 s7, s7, 0
	v_mov_b32_e32 v10, s14
	s_add_u32 s22, s22, 8
	v_mov_b32_e32 v11, s15
	s_addc_u32 s23, s23, 0
	v_cmp_ge_u64_e32 vcc, s[26:27], v[10:11]
	s_add_u32 s24, s24, 8
	v_add3_u32 v2, v13, v2, v6
	s_addc_u32 s25, s25, 0
	s_cbranch_vccnz .LBB0_8
; %bb.7:                                ;   in Loop: Header=BB0_2 Depth=1
	v_mov_b32_e32 v12, v4
	v_mov_b32_e32 v11, v3
	s_branch .LBB0_2
.LBB0_8:
	s_load_dwordx2 s[0:1], s[4:5], 0x28
	s_lshl_b64 s[14:15], s[14:15], 3
	s_add_u32 s4, s18, s14
	s_addc_u32 s5, s19, s15
                                        ; implicit-def: $sgpr18
                                        ; implicit-def: $vgpr6
	s_waitcnt lgkmcnt(0)
	v_cmp_gt_u64_e32 vcc, s[0:1], v[3:4]
	v_cmp_le_u64_e64 s[0:1], s[0:1], v[3:4]
	s_and_saveexec_b64 s[6:7], s[0:1]
	s_xor_b64 s[0:1], exec, s[6:7]
; %bb.9:
	s_mov_b32 s6, 0xf0f0f10
	v_mul_hi_u32 v6, v0, s6
	s_mov_b32 s18, 0
                                        ; implicit-def: $vgpr7_vgpr8
	v_mul_u32_u24_e32 v6, 17, v6
	v_sub_u32_e32 v6, v0, v6
                                        ; implicit-def: $vgpr0
; %bb.10:
	s_or_saveexec_b64 s[6:7], s[0:1]
	v_mov_b32_e32 v15, s18
	v_mov_b32_e32 v31, s18
	;; [unrolled: 1-line block ×8, first 2 shown]
                                        ; implicit-def: $vgpr20
                                        ; implicit-def: $vgpr17
                                        ; implicit-def: $vgpr22
                                        ; implicit-def: $vgpr10
                                        ; implicit-def: $vgpr32
                                        ; implicit-def: $vgpr13
                                        ; implicit-def: $vgpr21
                                        ; implicit-def: $vgpr9
                                        ; implicit-def: $vgpr27
                                        ; implicit-def: $vgpr23
                                        ; implicit-def: $vgpr30
                                        ; implicit-def: $vgpr12
                                        ; implicit-def: $vgpr33
                                        ; implicit-def: $vgpr14
                                        ; implicit-def: $vgpr24
                                        ; implicit-def: $vgpr11
	s_xor_b64 exec, exec, s[6:7]
	s_cbranch_execz .LBB0_12
; %bb.11:
	s_add_u32 s0, s16, s14
	s_mov_b32 s14, 0xf0f0f10
	v_mul_hi_u32 v6, v0, s14
	s_addc_u32 s1, s17, s15
	s_load_dwordx2 s[0:1], s[0:1], 0x0
	v_lshlrev_b64 v[7:8], 2, v[7:8]
	v_mul_u32_u24_e32 v6, 17, v6
	v_sub_u32_e32 v6, v0, v6
	v_mad_u64_u32 v[9:10], s[14:15], s20, v6, 0
	s_waitcnt lgkmcnt(0)
	v_mul_lo_u32 v15, s1, v3
	v_mul_lo_u32 v16, s0, v4
	v_mad_u64_u32 v[11:12], s[0:1], s0, v3, 0
	v_mov_b32_e32 v0, v10
	v_mad_u64_u32 v[13:14], s[0:1], s21, v6, v[0:1]
	v_add3_u32 v12, v12, v16, v15
	v_lshlrev_b64 v[11:12], 2, v[11:12]
	v_mov_b32_e32 v10, v13
	v_mov_b32_e32 v0, s9
	v_add_co_u32_e64 v13, s[0:1], s8, v11
	v_add_u32_e32 v14, 17, v6
	v_addc_co_u32_e64 v0, s[0:1], v0, v12, s[0:1]
	v_mad_u64_u32 v[11:12], s[0:1], s20, v14, 0
	v_add_co_u32_e64 v17, s[0:1], v13, v7
	v_addc_co_u32_e64 v18, s[0:1], v0, v8, s[0:1]
	v_mov_b32_e32 v0, v12
	v_add_u32_e32 v15, 34, v6
	v_lshlrev_b64 v[7:8], 2, v[9:10]
	v_mad_u64_u32 v[9:10], s[0:1], s21, v14, v[0:1]
	v_mad_u64_u32 v[13:14], s[0:1], s20, v15, 0
	v_add_co_u32_e64 v7, s[0:1], v17, v7
	v_mov_b32_e32 v12, v9
	v_mov_b32_e32 v0, v14
	v_addc_co_u32_e64 v8, s[0:1], v18, v8, s[0:1]
	v_lshlrev_b64 v[9:10], 2, v[11:12]
	v_mad_u64_u32 v[11:12], s[0:1], s21, v15, v[0:1]
	v_add_u32_e32 v12, 51, v6
	v_mad_u64_u32 v[15:16], s[0:1], s20, v12, 0
	v_add_co_u32_e64 v20, s[0:1], v17, v9
	v_mov_b32_e32 v14, v11
	v_mov_b32_e32 v0, v16
	v_addc_co_u32_e64 v21, s[0:1], v18, v10, s[0:1]
	v_lshlrev_b64 v[9:10], 2, v[13:14]
	v_mad_u64_u32 v[11:12], s[0:1], s21, v12, v[0:1]
	v_add_u32_e32 v14, 0x44, v6
	v_mad_u64_u32 v[12:13], s[0:1], s20, v14, 0
	v_add_co_u32_e64 v26, s[0:1], v17, v9
	v_mov_b32_e32 v0, v13
	v_addc_co_u32_e64 v27, s[0:1], v18, v10, s[0:1]
	v_mov_b32_e32 v16, v11
	v_mad_u64_u32 v[13:14], s[0:1], s21, v14, v[0:1]
	v_add_u32_e32 v11, 0x55, v6
	v_lshlrev_b64 v[9:10], 2, v[15:16]
	v_mad_u64_u32 v[14:15], s[0:1], s20, v11, 0
	v_add_co_u32_e64 v29, s[0:1], v17, v9
	v_mov_b32_e32 v0, v15
	v_addc_co_u32_e64 v30, s[0:1], v18, v10, s[0:1]
	v_lshlrev_b64 v[9:10], 2, v[12:13]
	v_mad_u64_u32 v[11:12], s[0:1], s21, v11, v[0:1]
	v_add_u32_e32 v16, 0x66, v6
	v_mad_u64_u32 v[12:13], s[0:1], s20, v16, 0
	v_add_co_u32_e64 v32, s[0:1], v17, v9
	v_mov_b32_e32 v15, v11
	v_mov_b32_e32 v0, v13
	v_addc_co_u32_e64 v33, s[0:1], v18, v10, s[0:1]
	v_lshlrev_b64 v[9:10], 2, v[14:15]
	v_mad_u64_u32 v[13:14], s[0:1], s21, v16, v[0:1]
	v_add_u32_e32 v11, 0x77, v6
	v_mad_u64_u32 v[14:15], s[0:1], s20, v11, 0
	v_add_co_u32_e64 v34, s[0:1], v17, v9
	v_mov_b32_e32 v0, v15
	v_addc_co_u32_e64 v35, s[0:1], v18, v10, s[0:1]
	v_lshlrev_b64 v[9:10], 2, v[12:13]
	v_mad_u64_u32 v[11:12], s[0:1], s21, v11, v[0:1]
	v_add_u32_e32 v16, 0x88, v6
	v_mad_u64_u32 v[12:13], s[0:1], s20, v16, 0
	v_add_co_u32_e64 v36, s[0:1], v17, v9
	v_mov_b32_e32 v15, v11
	v_mov_b32_e32 v0, v13
	v_addc_co_u32_e64 v37, s[0:1], v18, v10, s[0:1]
	v_lshlrev_b64 v[9:10], 2, v[14:15]
	v_mad_u64_u32 v[13:14], s[0:1], s21, v16, v[0:1]
	v_add_u32_e32 v11, 0x99, v6
	;; [unrolled: 15-line block ×5, first 2 shown]
	v_mad_u64_u32 v[14:15], s[0:1], s20, v11, 0
	v_add_co_u32_e64 v50, s[0:1], v17, v9
	v_mov_b32_e32 v0, v15
	v_addc_co_u32_e64 v51, s[0:1], v18, v10, s[0:1]
	v_lshlrev_b64 v[9:10], 2, v[12:13]
	v_mad_u64_u32 v[11:12], s[0:1], s21, v11, v[0:1]
	v_add_co_u32_e64 v52, s[0:1], v17, v9
	v_mov_b32_e32 v15, v11
	v_addc_co_u32_e64 v53, s[0:1], v18, v10, s[0:1]
	v_lshlrev_b64 v[9:10], 2, v[14:15]
	v_add_co_u32_e64 v54, s[0:1], v17, v9
	v_addc_co_u32_e64 v55, s[0:1], v18, v10, s[0:1]
	global_load_dword v17, v[40:41], off
	global_load_dword v10, v[42:43], off
	;; [unrolled: 1-line block ×15, first 2 shown]
                                        ; kill: killed $vgpr44 killed $vgpr45
                                        ; kill: killed $vgpr46 killed $vgpr47
                                        ; kill: killed $vgpr48 killed $vgpr49
                                        ; kill: killed $vgpr50 killed $vgpr51
                                        ; kill: killed $vgpr52 killed $vgpr53
                                        ; kill: killed $vgpr54 killed $vgpr55
                                        ; kill: killed $vgpr36 killed $vgpr37
                                        ; kill: killed $vgpr20 killed $vgpr21
                                        ; kill: killed $vgpr26 killed $vgpr27
                                        ; kill: killed $vgpr40 killed $vgpr41
                                        ; kill: killed $vgpr7 killed $vgpr8
                                        ; kill: killed $vgpr29 killed $vgpr30
                                        ; kill: killed $vgpr32 killed $vgpr33
                                        ; kill: killed $vgpr34 killed $vgpr35
                                        ; kill: killed $vgpr42 killed $vgpr43
	s_nop 0
	global_load_dword v29, v[38:39], off
	s_waitcnt vmcnt(15)
	v_lshrrev_b32_e32 v20, 16, v17
	s_waitcnt vmcnt(14)
	v_lshrrev_b32_e32 v22, 16, v10
	;; [unrolled: 2-line block ×8, first 2 shown]
.LBB0_12:
	s_or_b64 exec, exec, s[6:7]
	s_mov_b32 s0, 0x24924925
	v_mul_hi_u32 v0, v5, s0
	s_waitcnt vmcnt(3)
	v_sub_f16_e32 v23, v31, v23
	s_waitcnt vmcnt(2)
	v_lshrrev_b32_e32 v34, 16, v19
	v_sub_f16_e32 v7, v15, v17
	v_sub_u32_e32 v8, v5, v0
	v_lshrrev_b32_e32 v8, 1, v8
	v_add_u32_e32 v0, v8, v0
	v_lshrrev_b32_e32 v0, 2, v0
	v_mul_lo_u32 v0, v0, 7
	v_lshrrev_b32_e32 v26, 16, v31
	v_fma_f16 v17, v31, 2.0, -v23
	v_sub_f16_e32 v35, v34, v30
	v_sub_u32_e32 v0, v5, v0
	v_mul_u32_u24_e32 v43, 0x110, v0
	v_lshrrev_b32_e32 v0, 16, v25
	v_sub_f16_e32 v31, v0, v32
	v_lshrrev_b32_e32 v30, 16, v16
	v_sub_f16_e32 v13, v25, v13
	v_fma_f16 v5, v0, 2.0, -v31
	s_waitcnt vmcnt(1)
	v_lshrrev_b32_e32 v0, 16, v28
	v_sub_f16_e32 v14, v28, v14
	v_sub_f16_e32 v21, v30, v21
	v_fma_f16 v8, v15, 2.0, -v7
	v_fma_f16 v25, v25, 2.0, -v13
	v_sub_f16_e32 v32, v0, v33
	v_fma_f16 v28, v28, 2.0, -v14
	v_fma_f16 v36, v30, 2.0, -v21
	s_waitcnt vmcnt(0)
	v_lshrrev_b32_e32 v30, 16, v29
	v_sub_f16_e32 v27, v26, v27
	v_fma_f16 v0, v0, 2.0, -v32
	v_sub_f16_e32 v10, v18, v10
	v_sub_f16_e32 v12, v19, v12
	;; [unrolled: 1-line block ×5, first 2 shown]
	v_lshrrev_b32_e32 v33, 16, v18
	v_fma_f16 v18, v18, 2.0, -v10
	v_fma_f16 v19, v19, 2.0, -v12
	v_sub_f16_e32 v9, v16, v9
	v_sub_f16_e32 v11, v29, v11
	v_fma_f16 v38, v30, 2.0, -v24
	v_fma_f16 v8, v8, 2.0, -v17
	v_add_f16_e32 v39, v7, v27
	v_sub_f16_e32 v30, v5, v0
	v_fma_f16 v0, v25, 2.0, -v28
	v_add_f16_e32 v44, v13, v32
	v_sub_f16_e32 v22, v33, v22
	v_fma_f16 v16, v16, 2.0, -v9
	v_fma_f16 v37, v29, 2.0, -v11
	;; [unrolled: 1-line block ×3, first 2 shown]
	v_sub_f16_e32 v45, v31, v14
	v_fma_f16 v46, v13, 2.0, -v44
	v_sub_f16_e32 v13, v18, v19
	v_add_f16_e32 v19, v10, v35
	v_add_f16_e32 v24, v9, v24
	v_sub_f16_e32 v48, v8, v0
	s_mov_b32 s1, 0xb9a8
	v_fma_f16 v33, v33, 2.0, -v22
	v_fma_f16 v34, v34, 2.0, -v35
	;; [unrolled: 1-line block ×3, first 2 shown]
	v_sub_f16_e32 v12, v22, v12
	v_fma_f16 v10, v10, 2.0, -v19
	v_sub_f16_e32 v25, v16, v37
	v_sub_f16_e32 v11, v21, v11
	v_fma_f16 v9, v9, 2.0, -v24
	v_fma_f16 v0, v8, 2.0, -v48
	s_movk_i32 s0, 0x39a8
	v_fma_f16 v8, v46, s1, v7
	v_sub_f16_e32 v14, v33, v34
	v_fma_f16 v18, v18, 2.0, -v13
	v_fma_f16 v22, v22, 2.0, -v12
	v_sub_f16_e32 v34, v36, v38
	v_fma_f16 v16, v16, 2.0, -v25
	v_fma_f16 v21, v21, 2.0, -v11
	v_fma_f16 v49, v47, s0, v8
	v_fma_f16 v8, v9, s1, v10
	v_fma_f16 v29, v33, 2.0, -v14
	v_fma_f16 v42, v7, 2.0, -v49
	v_add_f16_e32 v50, v17, v30
	v_fma_f16 v7, v44, s0, v39
	v_sub_f16_e32 v33, v18, v16
	v_fma_f16 v16, v21, s1, v22
	v_fma_f16 v35, v21, s0, v8
	v_add_f16_e32 v53, v13, v34
	v_fma_f16 v8, v24, s0, v19
	v_fma_f16 v17, v17, 2.0, -v50
	v_fma_f16 v51, v45, s0, v7
	v_fma_f16 v37, v9, s1, v16
	v_sub_f16_e32 v54, v14, v25
	v_fma_f16 v55, v13, 2.0, -v53
	v_fma_f16 v9, v11, s0, v12
	v_fma_f16 v38, v11, s0, v8
	v_fma_f16 v52, v39, 2.0, -v51
	v_fma_f16 v32, v10, 2.0, -v35
	;; [unrolled: 1-line block ×3, first 2 shown]
	v_fma_f16 v39, v24, s1, v9
	v_fma_f16 v40, v19, 2.0, -v38
	s_mov_b32 s8, 0xbb64
	v_fma_f16 v9, v55, s1, v17
	s_mov_b32 s14, 0xb61f
	v_fma_f16 v31, v36, 2.0, -v34
	v_fma_f16 v7, v18, 2.0, -v33
	v_fma_f16 v36, v22, 2.0, -v37
	v_fma_f16 v41, v12, 2.0, -v39
	v_fma_f16 v8, v32, s8, v42
	s_movk_i32 s9, 0x361f
	v_fma_f16 v11, v56, s0, v9
	v_fma_f16 v9, v40, s14, v52
	s_movk_i32 s15, 0x3b64
	v_sub_f16_e32 v7, v0, v7
	v_fma_f16 v8, v36, s9, v8
	v_fma_f16 v14, v41, s15, v9
	v_fma_f16 v0, v0, 2.0, -v7
	v_fma_f16 v12, v42, 2.0, -v8
	;; [unrolled: 1-line block ×4, first 2 shown]
	v_lshl_add_u32 v52, v6, 5, 0
	v_lshl_add_u32 v42, v43, 1, v52
	v_pack_b32_f16 v9, v13, v21
	v_pack_b32_f16 v10, v0, v12
	ds_write2_b32 v42, v10, v9 offset1:1
	v_fma_f16 v9, v35, s9, v49
	v_sub_f16_e32 v31, v29, v31
	v_fma_f16 v18, v37, s15, v9
	v_fma_f16 v9, v53, s0, v50
	;; [unrolled: 1-line block ×3, first 2 shown]
	v_add_f16_e32 v25, v48, v31
	v_fma_f16 v17, v54, s0, v9
	v_fma_f16 v16, v39, s9, v10
	v_fma_f16 v22, v48, 2.0, -v25
	v_fma_f16 v24, v49, 2.0, -v18
	;; [unrolled: 1-line block ×4, first 2 shown]
	s_load_dwordx2 s[4:5], s[4:5], 0x0
	v_pack_b32_f16 v19, v9, v10
	v_pack_b32_f16 v34, v22, v24
	ds_write2_b32 v42, v34, v19 offset0:2 offset1:3
	v_pack_b32_f16 v19, v11, v14
	v_pack_b32_f16 v34, v7, v8
	ds_write2_b32 v42, v34, v19 offset0:4 offset1:5
	v_pack_b32_f16 v19, v17, v16
	v_pack_b32_f16 v34, v25, v18
	ds_write2_b32 v42, v34, v19 offset0:6 offset1:7
	v_mul_f16_e32 v50, 0x39a8, v46
	v_mul_f16_e32 v51, 0x39a8, v47
	;; [unrolled: 1-line block ×8, first 2 shown]
	v_cmp_gt_u32_e64 s[0:1], 16, v6
	v_lshlrev_b32_e32 v43, 1, v43
	v_lshlrev_b32_e32 v44, 1, v6
	s_waitcnt lgkmcnt(0)
	s_barrier
	s_waitcnt lgkmcnt(0)
                                        ; implicit-def: $vgpr19
	s_and_saveexec_b64 s[6:7], s[0:1]
	s_cbranch_execz .LBB0_14
; %bb.13:
	v_mul_i32_i24_e32 v7, 0xffffffe2, v6
	v_add3_u32 v0, 0, v43, v44
	v_add3_u32 v19, v52, v7, v43
	ds_read_u16 v0, v0
	ds_read_u16 v12, v19 offset:32
	ds_read_u16 v13, v19 offset:64
	;; [unrolled: 1-line block ×16, first 2 shown]
.LBB0_14:
	s_or_b64 exec, exec, s[6:7]
	v_lshrrev_b32_e32 v15, 16, v15
	v_sub_f16_e32 v20, v15, v20
	v_fma_f16 v15, v15, 2.0, -v20
	v_fma_f16 v26, v26, 2.0, -v27
	v_sub_f16_e32 v26, v15, v26
	v_fma_f16 v15, v15, 2.0, -v26
	v_sub_f16_e32 v23, v20, v23
	v_fma_f16 v5, v5, 2.0, -v30
	v_fma_f16 v20, v20, 2.0, -v23
	v_sub_f16_e32 v30, v15, v5
	v_fma_f16 v5, v15, 2.0, -v30
	v_sub_f16_e32 v15, v20, v51
	v_sub_f16_e32 v15, v15, v50
	;; [unrolled: 1-line block ×3, first 2 shown]
	v_fma_f16 v51, v26, 2.0, -v50
	v_add_f16_e32 v26, v23, v49
	v_fma_f16 v20, v20, 2.0, -v15
	v_sub_f16_e32 v49, v26, v34
	v_fma_f16 v26, v29, 2.0, -v31
	v_sub_f16_e32 v34, v5, v26
	v_fma_f16 v26, v36, s8, v20
	v_fma_f16 v26, v32, s14, v26
	v_fma_f16 v23, v23, 2.0, -v49
	v_fma_f16 v28, v20, 2.0, -v26
	v_sub_f16_e32 v20, v51, v48
	v_sub_f16_e32 v27, v20, v47
	v_fma_f16 v20, v41, s14, v23
	v_fma_f16 v32, v40, s8, v20
	;; [unrolled: 1-line block ×4, first 2 shown]
	v_sub_f16_e32 v36, v30, v33
	v_fma_f16 v35, v15, 2.0, -v37
	v_add_f16_e32 v15, v50, v46
	v_fma_f16 v33, v30, 2.0, -v36
	v_sub_f16_e32 v30, v15, v45
	v_fma_f16 v15, v39, s15, v49
	v_fma_f16 v5, v5, 2.0, -v34
	v_fma_f16 v29, v51, 2.0, -v27
	v_fma_f16 v31, v23, 2.0, -v32
	v_fma_f16 v23, v38, s14, v15
	v_fma_f16 v48, v50, 2.0, -v30
	v_fma_f16 v47, v49, 2.0, -v23
	v_pack_b32_f16 v15, v29, v31
	v_pack_b32_f16 v20, v5, v28
	s_waitcnt lgkmcnt(0)
	s_barrier
	ds_write2_b32 v42, v20, v15 offset1:1
	v_pack_b32_f16 v15, v48, v47
	v_pack_b32_f16 v20, v33, v35
	ds_write2_b32 v42, v20, v15 offset0:2 offset1:3
	v_pack_b32_f16 v15, v27, v32
	v_pack_b32_f16 v20, v34, v26
	ds_write2_b32 v42, v20, v15 offset0:4 offset1:5
	;; [unrolled: 3-line block ×3, first 2 shown]
	s_waitcnt lgkmcnt(0)
	s_barrier
	s_waitcnt lgkmcnt(0)
                                        ; implicit-def: $vgpr15
	s_and_saveexec_b64 s[6:7], s[0:1]
	s_cbranch_execz .LBB0_16
; %bb.15:
	v_add3_u32 v5, 0, v43, v44
	v_add3_u32 v15, 0, v44, v43
	ds_read_u16 v5, v5
	ds_read_u16 v28, v15 offset:32
	ds_read_u16 v29, v15 offset:64
	;; [unrolled: 1-line block ×16, first 2 shown]
.LBB0_16:
	s_or_b64 exec, exec, s[6:7]
	v_cmp_gt_u32_e64 s[0:1], 16, v6
	s_and_b64 s[0:1], vcc, s[0:1]
	s_and_saveexec_b64 s[6:7], s[0:1]
	s_cbranch_execz .LBB0_18
; %bb.17:
	v_lshlrev_b32_e32 v20, 4, v6
	v_and_b32_e32 v20, 0xf0, v20
	v_lshlrev_b32_e32 v20, 2, v20
	global_load_dwordx4 v[41:44], v20, s[12:13]
	global_load_dwordx4 v[49:52], v20, s[12:13] offset:48
	global_load_dwordx4 v[53:56], v20, s[12:13] offset:16
	;; [unrolled: 1-line block ×3, first 2 shown]
	v_mul_lo_u32 v20, s5, v3
	v_mul_lo_u32 v38, s4, v4
	v_mad_u64_u32 v[3:4], s[0:1], s4, v3, 0
	s_movk_i32 s6, 0x39e9
	s_movk_i32 s4, 0x2de8
	v_add3_u32 v4, v4, v38, v20
	s_mov_b32 s1, 0xb8d2
	s_mov_b32 s0, 0xbbdd
	;; [unrolled: 1-line block ×4, first 2 shown]
	s_movk_i32 s8, 0x3722
	s_movk_i32 s9, 0x3b76
	;; [unrolled: 1-line block ×4, first 2 shown]
	v_lshlrev_b64 v[3:4], 2, v[3:4]
	v_add_co_u32_e32 v3, vcc, s10, v3
	s_waitcnt vmcnt(3) lgkmcnt(14)
	v_mul_f16_sdwa v38, v28, v41 dst_sel:DWORD dst_unused:UNUSED_PAD src0_sel:DWORD src1_sel:WORD_1
	s_waitcnt vmcnt(2) lgkmcnt(0)
	v_mul_f16_sdwa v20, v15, v52 dst_sel:DWORD dst_unused:UNUSED_PAD src0_sel:DWORD src1_sel:WORD_1
	v_mul_f16_sdwa v39, v19, v52 dst_sel:DWORD dst_unused:UNUSED_PAD src0_sel:DWORD src1_sel:WORD_1
	;; [unrolled: 1-line block ×5, first 2 shown]
	s_waitcnt vmcnt(0)
	v_mul_f16_sdwa v72, v36, v60 dst_sel:DWORD dst_unused:UNUSED_PAD src0_sel:DWORD src1_sel:WORD_1
	v_mul_f16_sdwa v73, v25, v60 dst_sel:DWORD dst_unused:UNUSED_PAD src0_sel:DWORD src1_sel:WORD_1
	;; [unrolled: 1-line block ×4, first 2 shown]
	v_fma_f16 v19, v19, v52, v20
	v_fma_f16 v15, v15, v52, -v39
	v_fma_f16 v39, v12, v41, v38
	v_mul_f16_sdwa v61, v16, v51 dst_sel:DWORD dst_unused:UNUSED_PAD src0_sel:DWORD src1_sel:WORD_1
	v_mul_f16_sdwa v62, v13, v42 dst_sel:DWORD dst_unused:UNUSED_PAD src0_sel:DWORD src1_sel:WORD_1
	;; [unrolled: 1-line block ×11, first 2 shown]
	v_fma_f16 v20, v16, v51, v46
	v_fma_f16 v28, v28, v41, -v40
	v_fma_f16 v40, v13, v42, v45
	v_fma_f16 v38, v25, v60, v72
	v_fma_f16 v25, v36, v60, -v73
	v_fma_f16 v36, v35, v53, -v74
	;; [unrolled: 1-line block ×3, first 2 shown]
	v_sub_f16_e32 v27, v39, v19
	v_mul_f16_sdwa v68, v21, v43 dst_sel:DWORD dst_unused:UNUSED_PAD src0_sel:DWORD src1_sel:WORD_1
	v_mul_f16_sdwa v69, v33, v44 dst_sel:DWORD dst_unused:UNUSED_PAD src0_sel:DWORD src1_sel:WORD_1
	;; [unrolled: 1-line block ×3, first 2 shown]
	v_fma_f16 v16, v23, v51, -v61
	v_fma_f16 v23, v17, v50, v63
	v_fma_f16 v17, v30, v50, -v64
	v_fma_f16 v30, v18, v49, v65
	v_fma_f16 v18, v37, v49, -v66
	v_fma_f16 v29, v29, v42, -v62
	v_fma_f16 v41, v21, v43, v67
	v_fma_f16 v33, v33, v44, -v70
	v_fma_f16 v37, v26, v57, -v80
	v_add_f16_e32 v70, v28, v15
	v_sub_f16_e32 v26, v40, v20
	v_mul_f16_e32 v86, 0xb964, v27
	v_fma_f16 v31, v31, v43, -v68
	v_fma_f16 v43, v22, v44, v69
	v_fma_f16 v44, v24, v53, v71
	;; [unrolled: 1-line block ×3, first 2 shown]
	v_add_f16_e32 v69, v29, v16
	v_sub_f16_e32 v24, v41, v23
	v_mul_f16_e32 v85, 0xbbf7, v26
	v_fma_f16 v8, v70, s6, v86
	v_fma_f16 v45, v11, v58, v77
	v_add_f16_e32 v68, v31, v17
	v_sub_f16_e32 v22, v43, v30
	v_mul_f16_e32 v83, 0xba62, v24
	v_fma_f16 v11, v69, s4, v85
	v_add_f16_e32 v8, v5, v8
	v_add_f16_e32 v67, v33, v18
	v_sub_f16_e32 v21, v44, v38
	v_mul_f16_e32 v82, 0xb1e1, v22
	v_fma_f16 v12, v68, s1, v83
	v_add_f16_e32 v8, v8, v11
	v_add_f16_e32 v66, v36, v25
	v_mul_f16_e32 v80, 0x3836, v21
	v_fma_f16 v13, v67, s0, v82
	v_add_f16_e32 v8, v8, v12
	v_add_f16_e32 v8, v8, v13
	v_fma_f16 v11, v66, s5, v80
	v_add_f16_e32 v8, v8, v11
	v_mul_f16_sdwa v11, v48, v54 dst_sel:DWORD dst_unused:UNUSED_PAD src0_sel:DWORD src1_sel:WORD_1
	v_fma_f16 v62, v9, v54, v11
	v_mul_f16_sdwa v9, v9, v54 dst_sel:DWORD dst_unused:UNUSED_PAD src0_sel:DWORD src1_sel:WORD_1
	v_mul_f16_sdwa v75, v32, v59 dst_sel:DWORD dst_unused:UNUSED_PAD src0_sel:DWORD src1_sel:WORD_1
	v_fma_f16 v54, v48, v54, -v9
	v_mul_f16_sdwa v9, v47, v55 dst_sel:DWORD dst_unused:UNUSED_PAD src0_sel:DWORD src1_sel:WORD_1
	v_mul_f16_sdwa v76, v14, v59 dst_sel:DWORD dst_unused:UNUSED_PAD src0_sel:DWORD src1_sel:WORD_1
	v_fma_f16 v42, v14, v59, v75
	v_fma_f16 v63, v10, v55, v9
	v_mul_f16_sdwa v9, v10, v55 dst_sel:DWORD dst_unused:UNUSED_PAD src0_sel:DWORD src1_sel:WORD_1
	v_fma_f16 v32, v32, v59, -v76
	v_fma_f16 v57, v47, v55, -v9
	v_mul_f16_sdwa v9, v34, v56 dst_sel:DWORD dst_unused:UNUSED_PAD src0_sel:DWORD src1_sel:WORD_1
	v_sub_f16_e32 v47, v62, v42
	v_fma_f16 v64, v7, v56, v9
	v_mul_f16_sdwa v7, v7, v56 dst_sel:DWORD dst_unused:UNUSED_PAD src0_sel:DWORD src1_sel:WORD_1
	v_mul_f16_e32 v89, 0x3bb2, v47
	v_add_f16_e32 v72, v54, v32
	v_sub_f16_e32 v48, v63, v45
	v_fma_f16 v61, v34, v56, -v7
	v_fma_f16 v7, v72, s7, v89
	v_mul_f16_e32 v90, 0x3b29, v48
	v_add_f16_e32 v73, v57, v35
	v_sub_f16_e32 v50, v64, v46
	v_add_f16_e32 v7, v8, v7
	v_fma_f16 v8, v73, s8, v90
	v_mul_f16_e32 v92, 0x35c8, v50
	v_add_f16_e32 v74, v61, v37
	v_sub_f16_e32 v75, v28, v15
	v_add_f16_e32 v7, v7, v8
	v_fma_f16 v8, v74, s9, v92
	v_add_f16_e32 v51, v39, v19
	v_mul_f16_e32 v93, 0xb964, v75
	v_sub_f16_e32 v76, v29, v16
	v_add_f16_e32 v7, v7, v8
	v_fma_f16 v8, v51, s6, -v93
	v_add_f16_e32 v52, v40, v20
	v_mul_f16_e32 v94, 0xbbf7, v76
	v_sub_f16_e32 v77, v31, v17
	v_add_f16_e32 v8, v0, v8
	v_fma_f16 v9, v52, s4, -v94
	;; [unrolled: 5-line block ×7, first 2 shown]
	v_add_f16_e32 v60, v64, v46
	v_mul_f16_e32 v100, 0x35c8, v87
	v_add_f16_e32 v8, v8, v9
	v_fma_f16 v9, v60, s9, -v100
	v_mul_f16_e32 v101, 0xbb29, v27
	v_add_f16_e32 v8, v8, v9
	v_fma_f16 v9, v70, s8, v101
	v_mul_f16_e32 v102, 0xba62, v26
	v_add_f16_e32 v9, v5, v9
	v_fma_f16 v10, v69, s1, v102
	v_mul_f16_e32 v103, 0x31e1, v24
	v_add_f16_e32 v9, v9, v10
	v_fma_f16 v10, v68, s0, v103
	v_mul_f16_e32 v104, 0x3bb2, v22
	v_add_f16_e32 v9, v9, v10
	v_fma_f16 v10, v67, s7, v104
	v_mul_f16_e32 v105, 0x3964, v21
	v_add_f16_e32 v9, v9, v10
	v_fma_f16 v10, v66, s6, v105
	v_mul_f16_e32 v106, 0xb5c8, v47
	v_add_f16_e32 v9, v9, v10
	v_fma_f16 v10, v72, s9, v106
	v_mul_f16_e32 v107, 0xbbf7, v48
	v_add_f16_e32 v9, v9, v10
	v_fma_f16 v10, v73, s4, v107
	v_mul_f16_e32 v108, 0xb836, v50
	v_add_f16_e32 v9, v9, v10
	v_fma_f16 v10, v74, s5, v108
	v_mul_f16_e32 v109, 0xbb29, v75
	v_add_f16_e32 v9, v9, v10
	v_fma_f16 v10, v51, s8, -v109
	v_mul_f16_e32 v110, 0xba62, v76
	v_add_f16_e32 v10, v0, v10
	v_fma_f16 v11, v52, s1, -v110
	v_mul_f16_e32 v111, 0x31e1, v77
	v_add_f16_e32 v10, v10, v11
	v_fma_f16 v11, v53, s0, -v111
	v_mul_f16_e32 v112, 0x3bb2, v78
	v_add_f16_e32 v10, v10, v11
	v_fma_f16 v11, v56, s7, -v112
	v_mul_f16_e32 v113, 0x3964, v79
	v_add_f16_e32 v10, v10, v11
	v_fma_f16 v11, v59, s6, -v113
	v_mul_f16_e32 v114, 0xb5c8, v81
	v_add_f16_e32 v10, v10, v11
	v_fma_f16 v11, v55, s9, -v114
	v_mul_f16_e32 v115, 0xbbf7, v84
	v_add_f16_e32 v10, v10, v11
	v_fma_f16 v11, v58, s4, -v115
	v_mul_f16_e32 v116, 0xb836, v87
	v_add_f16_e32 v10, v10, v11
	v_fma_f16 v11, v60, s5, -v116
	v_mul_f16_e32 v117, 0xbbf7, v27
	v_add_f16_e32 v10, v10, v11
	v_fma_f16 v11, v70, s4, v117
	v_mul_f16_e32 v118, 0xb1e1, v26
	v_add_f16_e32 v11, v5, v11
	v_fma_f16 v12, v69, s0, v118
	v_mul_f16_e32 v119, 0x3bb2, v24
	v_add_f16_e32 v11, v11, v12
	v_fma_f16 v12, v68, s7, v119
	v_mul_f16_e32 v120, 0x35c8, v22
	v_add_f16_e32 v11, v11, v12
	v_fma_f16 v12, v67, s9, v120
	v_mul_f16_e32 v121, 0xbb29, v21
	v_add_f16_e32 v11, v11, v12
	v_fma_f16 v12, v66, s8, v121
	v_mul_f16_e32 v122, 0xb836, v47
	v_add_f16_e32 v11, v11, v12
	v_fma_f16 v12, v72, s5, v122
	v_mul_f16_e32 v123, 0x3a62, v48
	v_add_f16_e32 v11, v11, v12
	v_fma_f16 v12, v73, s1, v123
	v_mul_f16_e32 v124, 0x3964, v50
	v_add_f16_e32 v11, v11, v12
	v_fma_f16 v12, v74, s6, v124
	v_mul_f16_e32 v125, 0xbbf7, v75
	v_add_f16_e32 v11, v11, v12
	v_fma_f16 v12, v51, s4, -v125
	v_mul_f16_e32 v126, 0xb1e1, v76
	v_add_f16_e32 v12, v0, v12
	v_fma_f16 v13, v52, s0, -v126
	v_mul_f16_e32 v127, 0x3bb2, v77
	v_add_f16_e32 v12, v12, v13
	v_fma_f16 v13, v53, s7, -v127
	v_mul_f16_e32 v128, 0x35c8, v78
	v_add_f16_e32 v12, v12, v13
	v_fma_f16 v13, v56, s9, -v128
	v_mul_f16_e32 v129, 0xbb29, v79
	v_add_f16_e32 v12, v12, v13
	v_fma_f16 v13, v59, s8, -v129
	v_mul_f16_e32 v130, 0xb836, v81
	v_add_f16_e32 v12, v12, v13
	v_fma_f16 v13, v55, s5, -v130
	v_mul_f16_e32 v131, 0x3a62, v84
	v_add_f16_e32 v12, v12, v13
	v_fma_f16 v13, v58, s1, -v131
	;; [unrolled: 48-line block ×3, first 2 shown]
	v_mul_f16_e32 v148, 0xba62, v87
	v_add_f16_e32 v14, v14, v34
	v_fma_f16 v34, v60, s1, -v148
	v_mul_f16_e32 v149, 0xba62, v27
	v_add_f16_e32 v14, v14, v34
	v_fma_f16 v34, v70, s1, v149
	v_mul_f16_e32 v150, 0x3bb2, v26
	v_add_f16_e32 v34, v5, v34
	v_fma_f16 v49, v69, s7, v150
	;; [unrolled: 3-line block ×8, first 2 shown]
	v_mul_f16_e32 v157, 0xba62, v75
	v_add_f16_e32 v34, v34, v49
	v_fma_f16 v49, v51, s1, -v157
	v_mul_f16_e32 v158, 0x3bb2, v76
	v_add_f16_e32 v49, v0, v49
	v_fma_f16 v65, v52, s7, -v158
	;; [unrolled: 3-line block ×4, first 2 shown]
	v_mul_f16_e32 v161, 0x3bf7, v79
	v_add_f16_e32 v39, v0, v39
	v_add_f16_e32 v49, v49, v65
	v_fma_f16 v65, v59, s4, -v161
	v_mul_f16_e32 v162, 0xb964, v81
	v_add_f16_e32 v39, v39, v40
	v_add_f16_e32 v49, v49, v65
	v_fma_f16 v65, v55, s6, -v162
	;; [unrolled: 4-line block ×4, first 2 shown]
	v_mul_f16_e32 v165, 0xb836, v27
	v_add_f16_e32 v39, v39, v44
	v_add_f16_e32 v49, v49, v65
	v_fma_f16 v65, v70, s5, v165
	v_mul_f16_e32 v166, 0x3b29, v26
	v_add_f16_e32 v39, v39, v62
	v_add_f16_e32 v65, v5, v65
	v_fma_f16 v71, v69, s8, v166
	v_mul_f16_e32 v167, 0xbbf7, v24
	v_fma_f16 v86, v70, s6, -v86
	v_add_f16_e32 v39, v39, v63
	v_add_f16_e32 v65, v65, v71
	v_fma_f16 v71, v68, s4, v167
	v_mul_f16_e32 v168, 0x3a62, v22
	v_add_f16_e32 v86, v5, v86
	v_fma_f16 v85, v69, s4, -v85
	v_add_f16_e32 v39, v39, v64
	v_add_f16_e32 v65, v65, v71
	v_fma_f16 v71, v67, s1, v168
	v_mul_f16_e32 v169, 0xb5c8, v21
	v_add_f16_e32 v85, v86, v85
	;; [unrolled: 6-line block ×6, first 2 shown]
	v_fma_f16 v82, v73, s8, -v90
	v_add_f16_e32 v30, v30, v38
	v_add_f16_e32 v65, v65, v71
	v_fma_f16 v71, v51, s5, -v173
	v_mul_f16_e32 v174, 0x3b29, v76
	v_add_f16_e32 v80, v80, v82
	v_fma_f16 v82, v74, s9, -v92
	v_add_f16_e32 v23, v23, v30
	v_add_f16_e32 v71, v0, v71
	v_fma_f16 v88, v52, s8, -v174
	v_mul_f16_e32 v175, 0xbbf7, v77
	v_add_f16_e32 v80, v80, v82
	v_fma_f16 v82, v51, s6, v93
	v_add_f16_e32 v20, v20, v23
	v_add_f16_e32 v71, v71, v88
	v_fma_f16 v88, v53, s4, -v175
	v_mul_f16_e32 v176, 0x3a62, v78
	v_add_f16_e32 v82, v0, v82
	v_fma_f16 v83, v52, s4, v94
	v_add_f16_e32 v19, v19, v20
	v_add_f16_e32 v20, v5, v28
	v_add_f16_e32 v71, v71, v88
	v_fma_f16 v88, v56, s1, -v176
	v_mul_f16_e32 v177, 0xb5c8, v79
	v_add_f16_e32 v82, v82, v83
	v_fma_f16 v83, v53, s1, v95
	v_add_f16_e32 v20, v20, v29
	v_add_f16_e32 v71, v71, v88
	v_fma_f16 v88, v59, s9, -v177
	v_mul_f16_e32 v178, 0xb1e1, v81
	v_add_f16_e32 v82, v82, v83
	v_fma_f16 v83, v56, s0, v96
	v_add_f16_e32 v20, v20, v31
	v_add_f16_e32 v71, v71, v88
	v_fma_f16 v88, v55, s0, -v178
	v_mul_f16_e32 v179, 0x3964, v84
	v_add_f16_e32 v82, v82, v83
	v_fma_f16 v83, v59, s5, v97
	v_add_f16_e32 v20, v20, v33
	v_add_f16_e32 v71, v71, v88
	v_fma_f16 v88, v58, s6, -v179
	v_mul_f16_e32 v180, 0xbbb2, v87
	v_add_f16_e32 v82, v82, v83
	v_fma_f16 v83, v55, s7, v98
	v_add_f16_e32 v20, v20, v36
	v_add_f16_e32 v71, v71, v88
	v_fma_f16 v88, v60, s7, -v180
	v_mul_f16_e32 v181, 0xb1e1, v27
	v_add_f16_e32 v82, v82, v83
	v_fma_f16 v83, v58, s8, v99
	v_add_f16_e32 v20, v20, v54
	v_add_f16_e32 v71, v71, v88
	v_fma_f16 v88, v70, s0, v181
	v_mul_f16_e32 v182, 0x35c8, v26
	v_fma_f16 v181, v70, s0, -v181
	v_fma_f16 v165, v70, s5, -v165
	;; [unrolled: 1-line block ×6, first 2 shown]
	v_add_f16_e32 v82, v82, v83
	v_fma_f16 v83, v60, s9, v100
	v_mul_f16_e32 v70, 0x3b76, v70
	v_add_f16_e32 v20, v20, v57
	v_add_f16_e32 v88, v5, v88
	v_fma_f16 v91, v69, s9, v182
	v_mul_f16_e32 v183, 0xb836, v24
	v_add_f16_e32 v181, v5, v181
	v_fma_f16 v182, v69, s9, -v182
	v_add_f16_e32 v165, v5, v165
	v_fma_f16 v166, v69, s8, -v166
	;; [unrolled: 2-line block ×6, first 2 shown]
	v_add_f16_e32 v82, v82, v83
	v_fma_f16 v83, v27, s12, v70
	v_mul_f16_e32 v69, 0x39e9, v69
	v_add_f16_e32 v20, v20, v61
	v_add_f16_e32 v88, v88, v91
	v_fma_f16 v91, v68, s5, v183
	v_mul_f16_e32 v184, 0x3964, v22
	v_add_f16_e32 v181, v181, v182
	v_fma_f16 v182, v68, s5, -v183
	v_add_f16_e32 v165, v165, v166
	v_fma_f16 v166, v68, s4, -v167
	v_add_f16_e32 v149, v149, v150
	v_fma_f16 v150, v68, s9, -v151
	v_add_f16_e32 v133, v133, v134
	v_fma_f16 v134, v68, s6, -v135
	v_add_f16_e32 v117, v117, v118
	v_fma_f16 v118, v68, s7, -v119
	v_add_f16_e32 v101, v101, v102
	v_fma_f16 v102, v68, s0, -v103
	v_add_f16_e32 v83, v5, v83
	v_fma_f16 v85, v26, s13, v69
	s_movk_i32 s12, 0x3b29
	v_mul_f16_e32 v68, 0x3722, v68
	v_add_f16_e32 v20, v20, v37
	v_add_f16_e32 v88, v88, v91
	v_fma_f16 v91, v67, s6, v184
	v_mul_f16_e32 v185, 0xba62, v21
	v_add_f16_e32 v181, v181, v182
	v_fma_f16 v182, v67, s6, -v184
	v_add_f16_e32 v165, v165, v166
	v_fma_f16 v166, v67, s1, -v168
	v_add_f16_e32 v149, v149, v150
	v_fma_f16 v150, v67, s5, -v152
	v_add_f16_e32 v133, v133, v134
	v_fma_f16 v134, v67, s8, -v136
	v_add_f16_e32 v117, v117, v118
	v_fma_f16 v118, v67, s9, -v120
	v_add_f16_e32 v101, v101, v102
	v_fma_f16 v102, v67, s7, -v104
	v_add_f16_e32 v83, v83, v85
	v_fma_f16 v85, v24, s12, v68
	s_movk_i32 s12, 0x3bf7
	;; [unrolled: 20-line block ×5, first 2 shown]
	v_mul_f16_e32 v73, 0xbacd, v73
	v_add_f16_e32 v18, v18, v20
	v_add_f16_e32 v88, v88, v91
	v_fma_f16 v91, v74, s4, v188
	v_add_f16_e32 v181, v181, v182
	v_fma_f16 v182, v74, s4, -v188
	v_add_f16_e32 v165, v165, v166
	v_fma_f16 v166, v74, s7, -v172
	;; [unrolled: 2-line block ×6, first 2 shown]
	v_add_f16_e32 v83, v83, v85
	v_fma_f16 v85, v48, s12, v73
	s_movk_i32 s12, 0x31e1
	v_mul_f16_e32 v74, 0xbbdd, v74
	v_add_f16_e32 v17, v17, v18
	v_add_f16_e32 v83, v83, v85
	v_fma_f16 v85, v50, s12, v74
	v_add_f16_e32 v16, v16, v17
	s_mov_b32 s12, 0xb5c8
	v_mul_f16_e32 v189, 0xb1e1, v75
	v_add_f16_e32 v18, v15, v16
	v_fma_f16 v15, v27, s12, v70
	s_mov_b32 s12, 0xb964
	v_add_f16_e32 v88, v88, v91
	v_fma_f16 v91, v51, s0, -v189
	v_mul_f16_e32 v190, 0x35c8, v76
	v_add_f16_e32 v5, v5, v15
	v_fma_f16 v15, v26, s12, v69
	s_mov_b32 s12, 0xbb29
	v_add_f16_e32 v91, v0, v91
	v_fma_f16 v191, v52, s9, -v190
	v_add_f16_e32 v5, v5, v15
	v_fma_f16 v15, v24, s12, v68
	s_mov_b32 s12, 0xbbf7
	v_add_f16_e32 v91, v91, v191
	v_mul_f16_e32 v191, 0xb836, v77
	v_add_f16_e32 v5, v5, v15
	v_fma_f16 v15, v22, s12, v67
	s_mov_b32 s12, 0xbbb2
	v_fma_f16 v192, v53, s5, -v191
	v_add_f16_e32 v5, v5, v15
	v_fma_f16 v15, v21, s12, v66
	s_mov_b32 s12, 0xba62
	v_add_f16_e32 v91, v91, v192
	v_mul_f16_e32 v192, 0x3964, v78
	v_add_f16_e32 v165, v165, v166
	v_fma_f16 v166, v51, s5, v173
	v_add_f16_e32 v117, v117, v118
	v_fma_f16 v118, v51, s4, v125
	v_add_f16_e32 v5, v5, v15
	v_fma_f16 v15, v47, s12, v72
	s_mov_b32 s13, 0xb836
	v_fma_f16 v193, v56, s6, -v192
	v_add_f16_e32 v181, v181, v182
	v_fma_f16 v182, v51, s0, v189
	v_add_f16_e32 v166, v0, v166
	v_fma_f16 v167, v52, s8, v174
	;; [unrolled: 2-line block ×3, first 2 shown]
	s_mov_b32 s12, 0xb1e1
	v_add_f16_e32 v5, v5, v15
	v_fma_f16 v15, v48, s13, v73
	v_add_f16_e32 v91, v91, v193
	v_mul_f16_e32 v193, 0xba62, v79
	v_add_f16_e32 v182, v0, v182
	v_fma_f16 v183, v52, s9, v190
	v_add_f16_e32 v166, v166, v167
	v_fma_f16 v167, v53, s4, v175
	;; [unrolled: 2-line block ×4, first 2 shown]
	v_mul_f16_e32 v75, 0xb5c8, v75
	v_add_f16_e32 v5, v5, v15
	v_fma_f16 v15, v50, s12, v74
	v_fma_f16 v194, v59, s1, -v193
	v_add_f16_e32 v182, v182, v183
	v_fma_f16 v183, v53, s5, v191
	v_add_f16_e32 v166, v166, v167
	v_fma_f16 v167, v56, s1, v176
	;; [unrolled: 2-line block ×7, first 2 shown]
	v_mul_f16_e32 v76, 0xb964, v76
	v_add_f16_e32 v20, v5, v15
	v_fma_f16 v5, v51, s9, -v75
	v_add_f16_e32 v91, v91, v194
	v_mul_f16_e32 v194, 0x3b29, v81
	v_add_f16_e32 v182, v182, v183
	v_fma_f16 v183, v56, s6, v192
	v_add_f16_e32 v166, v166, v167
	v_fma_f16 v167, v59, s9, v177
	;; [unrolled: 2-line block ×3, first 2 shown]
	v_add_f16_e32 v134, v0, v134
	v_add_f16_e32 v118, v118, v119
	v_fma_f16 v119, v59, s8, v129
	v_add_f16_e32 v102, v0, v102
	v_fma_f16 v103, v52, s1, v110
	v_add_f16_e32 v85, v0, v85
	v_fma_f16 v86, v52, s6, v76
	v_mul_f16_e32 v77, 0xbb29, v77
	v_add_f16_e32 v0, v0, v5
	v_fma_f16 v5, v52, s6, -v76
	v_fma_f16 v195, v55, s8, -v194
	v_add_f16_e32 v182, v182, v183
	v_fma_f16 v183, v59, s1, v193
	v_add_f16_e32 v166, v166, v167
	v_fma_f16 v167, v55, s0, v178
	;; [unrolled: 2-line block ×6, first 2 shown]
	v_mul_f16_e32 v78, 0xbbf7, v78
	v_add_f16_e32 v0, v0, v5
	v_fma_f16 v5, v53, s8, -v77
	v_add_f16_e32 v91, v91, v195
	v_mul_f16_e32 v195, 0xbbb2, v84
	v_add_f16_e32 v182, v182, v183
	v_fma_f16 v183, v55, s8, v194
	v_add_f16_e32 v166, v166, v167
	v_fma_f16 v167, v58, s6, v179
	v_add_f16_e32 v150, v150, v151
	v_fma_f16 v151, v59, s4, v161
	v_fma_f16 v135, v52, s5, v142
	v_add_f16_e32 v118, v118, v119
	v_fma_f16 v119, v58, s1, v131
	v_add_f16_e32 v102, v102, v103
	;; [unrolled: 2-line block ×3, first 2 shown]
	v_fma_f16 v86, v56, s4, v78
	v_mul_f16_e32 v79, 0xbbb2, v79
	v_add_f16_e32 v0, v0, v5
	v_fma_f16 v5, v56, s4, -v78
	v_fma_f16 v196, v58, s7, -v195
	v_add_f16_e32 v182, v182, v183
	v_fma_f16 v183, v58, s7, v195
	v_add_f16_e32 v166, v166, v167
	v_fma_f16 v167, v60, s7, v180
	;; [unrolled: 2-line block ×7, first 2 shown]
	v_add_f16_e32 v0, v0, v5
	v_fma_f16 v5, v59, s7, -v79
	v_mad_u64_u32 v[15:16], s[6:7], s2, v6, 0
	v_mul_f16_e32 v81, 0xba62, v81
	v_add_f16_e32 v85, v85, v86
	v_fma_f16 v86, v55, s1, v81
	v_mul_f16_e32 v84, 0xb836, v84
	v_add_f16_e32 v134, v134, v135
	v_fma_f16 v135, v56, s8, v144
	v_add_f16_e32 v102, v102, v103
	v_fma_f16 v103, v55, s9, v114
	;; [unrolled: 2-line block ×3, first 2 shown]
	v_add_f16_e32 v0, v0, v5
	v_fma_f16 v5, v55, s1, -v81
	v_add_f16_e32 v91, v91, v196
	v_mul_f16_e32 v196, 0x3bf7, v87
	v_add_f16_e32 v134, v134, v135
	v_fma_f16 v135, v59, s0, v145
	v_add_f16_e32 v102, v102, v103
	v_fma_f16 v103, v58, s4, v115
	v_add_f16_e32 v85, v85, v86
	v_mul_f16_e32 v86, 0xb1e1, v87
	v_add_f16_e32 v5, v0, v5
	v_fma_f16 v21, v58, s5, -v84
	v_mov_b32_e32 v0, v16
	v_fma_f16 v197, v60, s4, -v196
	v_add_f16_e32 v182, v182, v183
	v_fma_f16 v183, v60, s4, v196
	v_add_f16_e32 v134, v134, v135
	v_fma_f16 v135, v55, s4, v146
	;; [unrolled: 2-line block ×3, first 2 shown]
	v_mad_u64_u32 v[16:17], s[4:5], s3, v6, v[0:1]
	v_add_f16_e32 v0, v5, v21
	v_fma_f16 v5, v60, s0, -v86
	v_add_f16_e32 v17, v0, v5
	v_mov_b32_e32 v0, s11
	v_addc_co_u32_e32 v4, vcc, v0, v4, vcc
	v_lshlrev_b64 v[0:1], 2, v[1:2]
	v_add_f16_e32 v134, v134, v135
	v_add_co_u32_e32 v21, vcc, v3, v0
	v_fma_f16 v135, v58, s9, v147
	v_addc_co_u32_e32 v22, vcc, v4, v1, vcc
	v_or_b32_e32 v4, 16, v6
	v_add_f16_e32 v150, v150, v151
	v_fma_f16 v151, v58, s0, v163
	v_add_f16_e32 v134, v134, v135
	v_fma_f16 v135, v60, s1, v148
	v_fma_f16 v87, v60, s0, v86
	v_mad_u64_u32 v[2:3], s[0:1], s2, v4, 0
	v_lshlrev_b64 v[0:1], 2, v[15:16]
	v_or_b32_e32 v16, 32, v6
	v_mad_u64_u32 v[3:4], s[0:1], s3, v4, v[3:4]
	v_mad_u64_u32 v[4:5], s[0:1], s2, v16, 0
	v_add_co_u32_e32 v0, vcc, v21, v0
	v_addc_co_u32_e32 v1, vcc, v22, v1, vcc
	v_pack_b32_f16 v15, v19, v18
	global_store_dword v[0:1], v15, off
	v_lshlrev_b64 v[0:1], 2, v[2:3]
	v_mov_b32_e32 v2, v5
	v_mad_u64_u32 v[2:3], s[0:1], s3, v16, v[2:3]
	v_add_f16_e32 v85, v85, v87
	v_add_co_u32_e32 v0, vcc, v21, v0
	v_addc_co_u32_e32 v1, vcc, v22, v1, vcc
	v_pack_b32_f16 v3, v85, v83
	v_mov_b32_e32 v5, v2
	global_store_dword v[0:1], v3, off
	v_lshlrev_b64 v[0:1], 2, v[4:5]
	v_or_b32_e32 v4, 48, v6
	v_mad_u64_u32 v[2:3], s[0:1], s2, v4, 0
	v_or_b32_e32 v16, 64, v6
	v_add_co_u32_e32 v0, vcc, v21, v0
	v_mad_u64_u32 v[3:4], s[0:1], s3, v4, v[3:4]
	v_mad_u64_u32 v[4:5], s[0:1], s2, v16, 0
	v_addc_co_u32_e32 v1, vcc, v22, v1, vcc
	v_pack_b32_f16 v15, v82, v80
	global_store_dword v[0:1], v15, off
	v_lshlrev_b64 v[0:1], 2, v[2:3]
	v_mov_b32_e32 v2, v5
	v_mad_u64_u32 v[2:3], s[0:1], s3, v16, v[2:3]
	v_add_f16_e32 v102, v102, v103
	v_add_co_u32_e32 v0, vcc, v21, v0
	v_addc_co_u32_e32 v1, vcc, v22, v1, vcc
	v_pack_b32_f16 v3, v102, v101
	v_mov_b32_e32 v5, v2
	global_store_dword v[0:1], v3, off
	v_lshlrev_b64 v[0:1], 2, v[4:5]
	v_or_b32_e32 v4, 0x50, v6
	v_mad_u64_u32 v[2:3], s[0:1], s2, v4, 0
	v_or_b32_e32 v16, 0x60, v6
	v_add_f16_e32 v118, v118, v119
	v_mad_u64_u32 v[3:4], s[0:1], s3, v4, v[3:4]
	v_mad_u64_u32 v[4:5], s[0:1], s2, v16, 0
	v_add_co_u32_e32 v0, vcc, v21, v0
	v_addc_co_u32_e32 v1, vcc, v22, v1, vcc
	v_pack_b32_f16 v15, v118, v117
	global_store_dword v[0:1], v15, off
	v_lshlrev_b64 v[0:1], 2, v[2:3]
	v_mov_b32_e32 v2, v5
	v_mad_u64_u32 v[2:3], s[0:1], s3, v16, v[2:3]
	v_add_f16_e32 v134, v134, v135
	v_add_co_u32_e32 v0, vcc, v21, v0
	v_addc_co_u32_e32 v1, vcc, v22, v1, vcc
	v_pack_b32_f16 v3, v134, v133
	v_mov_b32_e32 v5, v2
	global_store_dword v[0:1], v3, off
	v_lshlrev_b64 v[0:1], 2, v[4:5]
	v_or_b32_e32 v4, 0x70, v6
	v_mad_u64_u32 v[2:3], s[0:1], s2, v4, 0
	v_or_b32_e32 v16, 0x80, v6
	v_add_f16_e32 v150, v150, v151
	v_mad_u64_u32 v[3:4], s[0:1], s3, v4, v[3:4]
	v_mad_u64_u32 v[4:5], s[0:1], s2, v16, 0
	v_fma_f16 v151, v60, s8, v164
	v_add_f16_e32 v150, v150, v151
	v_add_co_u32_e32 v0, vcc, v21, v0
	v_addc_co_u32_e32 v1, vcc, v22, v1, vcc
	v_pack_b32_f16 v15, v150, v149
	global_store_dword v[0:1], v15, off
	v_lshlrev_b64 v[0:1], 2, v[2:3]
	v_mov_b32_e32 v2, v5
	v_mad_u64_u32 v[2:3], s[0:1], s3, v16, v[2:3]
	v_add_f16_e32 v166, v166, v167
	v_add_co_u32_e32 v0, vcc, v21, v0
	v_addc_co_u32_e32 v1, vcc, v22, v1, vcc
	v_pack_b32_f16 v3, v166, v165
	v_mov_b32_e32 v5, v2
	global_store_dword v[0:1], v3, off
	v_lshlrev_b64 v[0:1], 2, v[4:5]
	v_or_b32_e32 v4, 0x90, v6
	v_mad_u64_u32 v[2:3], s[0:1], s2, v4, 0
	v_or_b32_e32 v16, 0xa0, v6
	v_add_f16_e32 v182, v182, v183
	v_mad_u64_u32 v[3:4], s[0:1], s3, v4, v[3:4]
	v_mad_u64_u32 v[4:5], s[0:1], s2, v16, 0
	v_add_co_u32_e32 v0, vcc, v21, v0
	v_addc_co_u32_e32 v1, vcc, v22, v1, vcc
	v_pack_b32_f16 v15, v182, v181
	global_store_dword v[0:1], v15, off
	v_lshlrev_b64 v[0:1], 2, v[2:3]
	v_mov_b32_e32 v2, v5
	v_mad_u64_u32 v[2:3], s[0:1], s3, v16, v[2:3]
	v_add_f16_e32 v91, v91, v197
	v_add_co_u32_e32 v0, vcc, v21, v0
	v_addc_co_u32_e32 v1, vcc, v22, v1, vcc
	v_pack_b32_f16 v3, v91, v88
	v_mov_b32_e32 v5, v2
	global_store_dword v[0:1], v3, off
	v_lshlrev_b64 v[0:1], 2, v[4:5]
	v_or_b32_e32 v4, 0xb0, v6
	v_mad_u64_u32 v[2:3], s[0:1], s2, v4, 0
	v_or_b32_e32 v16, 0xc0, v6
	v_add_co_u32_e32 v0, vcc, v21, v0
	v_mad_u64_u32 v[3:4], s[0:1], s3, v4, v[3:4]
	v_mad_u64_u32 v[4:5], s[0:1], s2, v16, 0
	v_addc_co_u32_e32 v1, vcc, v22, v1, vcc
	v_pack_b32_f16 v15, v71, v65
	global_store_dword v[0:1], v15, off
	v_lshlrev_b64 v[0:1], 2, v[2:3]
	v_mov_b32_e32 v2, v5
	v_mad_u64_u32 v[2:3], s[0:1], s3, v16, v[2:3]
	v_add_co_u32_e32 v0, vcc, v21, v0
	v_addc_co_u32_e32 v1, vcc, v22, v1, vcc
	v_pack_b32_f16 v3, v49, v34
	v_mov_b32_e32 v5, v2
	global_store_dword v[0:1], v3, off
	v_lshlrev_b64 v[0:1], 2, v[4:5]
	v_or_b32_e32 v4, 0xd0, v6
	v_mad_u64_u32 v[2:3], s[0:1], s2, v4, 0
	v_pack_b32_f16 v13, v14, v13
	v_or_b32_e32 v14, 0xe0, v6
	v_mad_u64_u32 v[3:4], s[0:1], s3, v4, v[3:4]
	v_mad_u64_u32 v[4:5], s[0:1], s2, v14, 0
	v_add_co_u32_e32 v0, vcc, v21, v0
	v_addc_co_u32_e32 v1, vcc, v22, v1, vcc
	global_store_dword v[0:1], v13, off
	v_lshlrev_b64 v[0:1], 2, v[2:3]
	v_mov_b32_e32 v2, v5
	v_mad_u64_u32 v[2:3], s[0:1], s3, v14, v[2:3]
	v_add_co_u32_e32 v0, vcc, v21, v0
	v_addc_co_u32_e32 v1, vcc, v22, v1, vcc
	v_pack_b32_f16 v3, v12, v11
	v_mov_b32_e32 v5, v2
	global_store_dword v[0:1], v3, off
	v_lshlrev_b64 v[0:1], 2, v[4:5]
	v_or_b32_e32 v4, 0xf0, v6
	v_mad_u64_u32 v[2:3], s[0:1], s2, v4, 0
	v_or_b32_e32 v6, 0x100, v6
	v_add_co_u32_e32 v0, vcc, v21, v0
	v_mad_u64_u32 v[3:4], s[0:1], s3, v4, v[3:4]
	v_mad_u64_u32 v[4:5], s[0:1], s2, v6, 0
	v_addc_co_u32_e32 v1, vcc, v22, v1, vcc
	v_pack_b32_f16 v9, v10, v9
	global_store_dword v[0:1], v9, off
	v_lshlrev_b64 v[0:1], 2, v[2:3]
	v_mov_b32_e32 v2, v5
	v_mad_u64_u32 v[2:3], s[0:1], s3, v6, v[2:3]
	v_add_co_u32_e32 v0, vcc, v21, v0
	v_addc_co_u32_e32 v1, vcc, v22, v1, vcc
	v_pack_b32_f16 v3, v8, v7
	v_mov_b32_e32 v5, v2
	global_store_dword v[0:1], v3, off
	v_lshlrev_b64 v[0:1], 2, v[4:5]
	v_pack_b32_f16 v2, v17, v20
	v_add_co_u32_e32 v0, vcc, v21, v0
	v_addc_co_u32_e32 v1, vcc, v22, v1, vcc
	global_store_dword v[0:1], v2, off
.LBB0_18:
	s_endpgm
	.section	.rodata,"a",@progbits
	.p2align	6, 0x0
	.amdhsa_kernel fft_rtc_back_len272_factors_16_17_wgs_119_tpt_17_halfLds_half_op_CI_CI_sbrr_dirReg
		.amdhsa_group_segment_fixed_size 0
		.amdhsa_private_segment_fixed_size 0
		.amdhsa_kernarg_size 104
		.amdhsa_user_sgpr_count 6
		.amdhsa_user_sgpr_private_segment_buffer 1
		.amdhsa_user_sgpr_dispatch_ptr 0
		.amdhsa_user_sgpr_queue_ptr 0
		.amdhsa_user_sgpr_kernarg_segment_ptr 1
		.amdhsa_user_sgpr_dispatch_id 0
		.amdhsa_user_sgpr_flat_scratch_init 0
		.amdhsa_user_sgpr_private_segment_size 0
		.amdhsa_uses_dynamic_stack 0
		.amdhsa_system_sgpr_private_segment_wavefront_offset 0
		.amdhsa_system_sgpr_workgroup_id_x 1
		.amdhsa_system_sgpr_workgroup_id_y 0
		.amdhsa_system_sgpr_workgroup_id_z 0
		.amdhsa_system_sgpr_workgroup_info 0
		.amdhsa_system_vgpr_workitem_id 0
		.amdhsa_next_free_vgpr 198
		.amdhsa_next_free_sgpr 32
		.amdhsa_reserve_vcc 1
		.amdhsa_reserve_flat_scratch 0
		.amdhsa_float_round_mode_32 0
		.amdhsa_float_round_mode_16_64 0
		.amdhsa_float_denorm_mode_32 3
		.amdhsa_float_denorm_mode_16_64 3
		.amdhsa_dx10_clamp 1
		.amdhsa_ieee_mode 1
		.amdhsa_fp16_overflow 0
		.amdhsa_exception_fp_ieee_invalid_op 0
		.amdhsa_exception_fp_denorm_src 0
		.amdhsa_exception_fp_ieee_div_zero 0
		.amdhsa_exception_fp_ieee_overflow 0
		.amdhsa_exception_fp_ieee_underflow 0
		.amdhsa_exception_fp_ieee_inexact 0
		.amdhsa_exception_int_div_zero 0
	.end_amdhsa_kernel
	.text
.Lfunc_end0:
	.size	fft_rtc_back_len272_factors_16_17_wgs_119_tpt_17_halfLds_half_op_CI_CI_sbrr_dirReg, .Lfunc_end0-fft_rtc_back_len272_factors_16_17_wgs_119_tpt_17_halfLds_half_op_CI_CI_sbrr_dirReg
                                        ; -- End function
	.section	.AMDGPU.csdata,"",@progbits
; Kernel info:
; codeLenInByte = 10340
; NumSgprs: 36
; NumVgprs: 198
; ScratchSize: 0
; MemoryBound: 0
; FloatMode: 240
; IeeeMode: 1
; LDSByteSize: 0 bytes/workgroup (compile time only)
; SGPRBlocks: 4
; VGPRBlocks: 49
; NumSGPRsForWavesPerEU: 36
; NumVGPRsForWavesPerEU: 198
; Occupancy: 1
; WaveLimiterHint : 1
; COMPUTE_PGM_RSRC2:SCRATCH_EN: 0
; COMPUTE_PGM_RSRC2:USER_SGPR: 6
; COMPUTE_PGM_RSRC2:TRAP_HANDLER: 0
; COMPUTE_PGM_RSRC2:TGID_X_EN: 1
; COMPUTE_PGM_RSRC2:TGID_Y_EN: 0
; COMPUTE_PGM_RSRC2:TGID_Z_EN: 0
; COMPUTE_PGM_RSRC2:TIDIG_COMP_CNT: 0
	.type	__hip_cuid_6339b8d15b9e006b,@object ; @__hip_cuid_6339b8d15b9e006b
	.section	.bss,"aw",@nobits
	.globl	__hip_cuid_6339b8d15b9e006b
__hip_cuid_6339b8d15b9e006b:
	.byte	0                               ; 0x0
	.size	__hip_cuid_6339b8d15b9e006b, 1

	.ident	"AMD clang version 19.0.0git (https://github.com/RadeonOpenCompute/llvm-project roc-6.4.0 25133 c7fe45cf4b819c5991fe208aaa96edf142730f1d)"
	.section	".note.GNU-stack","",@progbits
	.addrsig
	.addrsig_sym __hip_cuid_6339b8d15b9e006b
	.amdgpu_metadata
---
amdhsa.kernels:
  - .args:
      - .actual_access:  read_only
        .address_space:  global
        .offset:         0
        .size:           8
        .value_kind:     global_buffer
      - .offset:         8
        .size:           8
        .value_kind:     by_value
      - .actual_access:  read_only
        .address_space:  global
        .offset:         16
        .size:           8
        .value_kind:     global_buffer
      - .actual_access:  read_only
        .address_space:  global
        .offset:         24
        .size:           8
        .value_kind:     global_buffer
      - .actual_access:  read_only
        .address_space:  global
        .offset:         32
        .size:           8
        .value_kind:     global_buffer
      - .offset:         40
        .size:           8
        .value_kind:     by_value
      - .actual_access:  read_only
        .address_space:  global
        .offset:         48
        .size:           8
        .value_kind:     global_buffer
      - .actual_access:  read_only
        .address_space:  global
        .offset:         56
        .size:           8
        .value_kind:     global_buffer
      - .offset:         64
        .size:           4
        .value_kind:     by_value
      - .actual_access:  read_only
        .address_space:  global
        .offset:         72
        .size:           8
        .value_kind:     global_buffer
      - .actual_access:  read_only
        .address_space:  global
        .offset:         80
        .size:           8
        .value_kind:     global_buffer
      - .actual_access:  read_only
        .address_space:  global
        .offset:         88
        .size:           8
        .value_kind:     global_buffer
      - .actual_access:  write_only
        .address_space:  global
        .offset:         96
        .size:           8
        .value_kind:     global_buffer
    .group_segment_fixed_size: 0
    .kernarg_segment_align: 8
    .kernarg_segment_size: 104
    .language:       OpenCL C
    .language_version:
      - 2
      - 0
    .max_flat_workgroup_size: 119
    .name:           fft_rtc_back_len272_factors_16_17_wgs_119_tpt_17_halfLds_half_op_CI_CI_sbrr_dirReg
    .private_segment_fixed_size: 0
    .sgpr_count:     36
    .sgpr_spill_count: 0
    .symbol:         fft_rtc_back_len272_factors_16_17_wgs_119_tpt_17_halfLds_half_op_CI_CI_sbrr_dirReg.kd
    .uniform_work_group_size: 1
    .uses_dynamic_stack: false
    .vgpr_count:     198
    .vgpr_spill_count: 0
    .wavefront_size: 64
amdhsa.target:   amdgcn-amd-amdhsa--gfx906
amdhsa.version:
  - 1
  - 2
...

	.end_amdgpu_metadata
